;; amdgpu-corpus repo=ROCm/rocFFT kind=compiled arch=gfx906 opt=O3
	.text
	.amdgcn_target "amdgcn-amd-amdhsa--gfx906"
	.amdhsa_code_object_version 6
	.protected	bluestein_single_fwd_len1344_dim1_sp_op_CI_CI ; -- Begin function bluestein_single_fwd_len1344_dim1_sp_op_CI_CI
	.globl	bluestein_single_fwd_len1344_dim1_sp_op_CI_CI
	.p2align	8
	.type	bluestein_single_fwd_len1344_dim1_sp_op_CI_CI,@function
bluestein_single_fwd_len1344_dim1_sp_op_CI_CI: ; @bluestein_single_fwd_len1344_dim1_sp_op_CI_CI
; %bb.0:
	s_load_dwordx4 s[16:19], s[4:5], 0x28
	v_mul_u32_u24_e32 v1, 0x125, v0
	v_add_u32_sdwa v32, s6, v1 dst_sel:DWORD dst_unused:UNUSED_PAD src0_sel:DWORD src1_sel:WORD_1
	v_mov_b32_e32 v33, 0
	s_waitcnt lgkmcnt(0)
	v_cmp_gt_u64_e32 vcc, s[16:17], v[32:33]
	s_and_saveexec_b64 s[0:1], vcc
	s_cbranch_execz .LBB0_10
; %bb.1:
	s_load_dwordx4 s[0:3], s[4:5], 0x18
	s_load_dwordx4 s[12:15], s[4:5], 0x0
	v_mov_b32_e32 v10, 0xfffff200
	s_load_dwordx2 s[4:5], s[4:5], 0x38
	s_waitcnt lgkmcnt(0)
	s_load_dwordx4 s[8:11], s[0:1], 0x0
	s_movk_i32 s0, 0xe0
	v_mul_lo_u16_sdwa v1, v1, s0 dst_sel:DWORD dst_unused:UNUSED_PAD src0_sel:WORD_1 src1_sel:DWORD
	v_sub_u16_e32 v58, v0, v1
	v_lshlrev_b32_e32 v57, 3, v58
	s_waitcnt lgkmcnt(0)
	v_mad_u64_u32 v[0:1], s[0:1], s10, v32, 0
	v_mad_u64_u32 v[2:3], s[0:1], s8, v58, 0
	s_mul_i32 s7, s8, 0x1500
	global_load_dwordx2 v[39:40], v57, s[12:13]
	v_mad_u64_u32 v[4:5], s[0:1], s11, v32, v[1:2]
	s_movk_i32 s10, 0x1000
	v_lshlrev_b32_e32 v60, 4, v58
	v_mad_u64_u32 v[5:6], s[0:1], s9, v58, v[3:4]
	v_mov_b32_e32 v1, v4
	v_lshlrev_b64 v[0:1], 3, v[0:1]
	v_mov_b32_e32 v6, s19
	v_mov_b32_e32 v3, v5
	v_add_co_u32_e32 v4, vcc, s18, v0
	v_addc_co_u32_e32 v5, vcc, v6, v1, vcc
	v_lshlrev_b64 v[0:1], 3, v[2:3]
	v_mov_b32_e32 v2, s13
	v_add_co_u32_e32 v0, vcc, v4, v0
	v_addc_co_u32_e32 v1, vcc, v5, v1, vcc
	v_add_co_u32_e32 v59, vcc, s12, v57
	v_addc_co_u32_e64 v16, s[0:1], 0, v2, vcc
	s_mul_i32 s0, s9, 0x1500
	s_mul_hi_u32 s1, s8, 0x1500
	s_add_i32 s6, s1, s0
	v_mov_b32_e32 v3, s6
	v_add_co_u32_e64 v2, s[0:1], s7, v0
	v_addc_co_u32_e64 v3, s[0:1], v1, v3, s[0:1]
	global_load_dwordx2 v[4:5], v[0:1], off
	global_load_dwordx2 v[6:7], v[2:3], off
	v_mad_u64_u32 v[0:1], s[0:1], s8, v10, v[2:3]
	v_add_co_u32_e64 v2, s[0:1], s10, v59
	v_addc_co_u32_e64 v3, s[0:1], 0, v16, s[0:1]
	s_mul_i32 s0, s9, 0xfffff200
	s_sub_i32 s9, s0, s8
	v_add_u32_e32 v1, s9, v1
	v_mov_b32_e32 v9, s6
	v_add_co_u32_e64 v8, s[0:1], s7, v0
	v_addc_co_u32_e64 v9, s[0:1], v1, v9, s[0:1]
	v_mad_u64_u32 v[10:11], s[0:1], s8, v10, v[8:9]
	global_load_dwordx2 v[12:13], v[8:9], off
	global_load_dwordx2 v[43:44], v[2:3], off offset:1280
	global_load_dwordx2 v[37:38], v[2:3], off offset:3072
	v_add_u32_e32 v78, 0xe0, v58
	v_add_u32_e32 v11, s9, v11
	global_load_dwordx2 v[2:3], v[0:1], off
	global_load_dwordx2 v[14:15], v[10:11], off
	global_load_dwordx2 v[41:42], v57, s[12:13] offset:1792
	global_load_dwordx2 v[33:34], v57, s[12:13] offset:3584
	v_mov_b32_e32 v1, s6
	v_add_co_u32_e64 v0, s[0:1], s7, v10
	v_addc_co_u32_e64 v1, s[0:1], v11, v1, s[0:1]
	s_movk_i32 s0, 0x2000
	v_add_co_u32_e64 v8, s[0:1], s0, v59
	v_addc_co_u32_e64 v9, s[0:1], 0, v16, s[0:1]
	global_load_dwordx2 v[35:36], v[8:9], off offset:768
	global_load_dwordx2 v[10:11], v[0:1], off
	v_add_u32_e32 v8, 0x1c00, v57
	v_add_u32_e32 v9, 0xe00, v57
	s_load_dwordx4 s[8:11], s[2:3], 0x0
	s_movk_i32 s0, 0x1fc
	s_movk_i32 s1, 0x3fc
	;; [unrolled: 1-line block ×3, first 2 shown]
	s_waitcnt vmcnt(10)
	v_mul_f32_e32 v0, v5, v40
	v_mul_f32_e32 v1, v4, v40
	v_fmac_f32_e32 v0, v4, v39
	v_fma_f32 v1, v5, v39, -v1
	s_waitcnt vmcnt(7)
	v_mul_f32_e32 v4, v7, v44
	v_mul_f32_e32 v5, v6, v44
	v_fmac_f32_e32 v4, v6, v43
	v_fma_f32 v5, v7, v43, -v5
	ds_write_b64 v57, v[4:5] offset:5376
	s_waitcnt vmcnt(3)
	v_mul_f32_e32 v4, v3, v42
	v_mul_f32_e32 v5, v2, v42
	v_fmac_f32_e32 v4, v2, v41
	v_fma_f32 v5, v3, v41, -v5
	v_mul_f32_e32 v2, v13, v38
	v_mul_f32_e32 v3, v12, v38
	ds_write2_b64 v57, v[0:1], v[4:5] offset1:224
	s_waitcnt vmcnt(2)
	v_mul_f32_e32 v0, v15, v34
	v_mul_f32_e32 v1, v14, v34
	v_fmac_f32_e32 v2, v12, v37
	s_waitcnt vmcnt(0)
	v_mul_f32_e32 v4, v11, v36
	v_mul_f32_e32 v5, v10, v36
	v_fma_f32 v3, v13, v37, -v3
	v_fmac_f32_e32 v0, v14, v33
	v_fma_f32 v1, v15, v33, -v1
	v_fmac_f32_e32 v4, v10, v35
	v_fma_f32 v5, v11, v35, -v5
	ds_write_b64 v57, v[0:1] offset:3584
	ds_write2_b64 v8, v[2:3], v[4:5] offset1:224
	s_waitcnt lgkmcnt(0)
	s_barrier
	ds_read2_b64 v[0:3], v57 offset1:224
	ds_read2_b64 v[4:7], v9 offset1:224
	;; [unrolled: 1-line block ×3, first 2 shown]
	s_waitcnt lgkmcnt(0)
	s_barrier
	v_sub_f32_e32 v16, v0, v6
	v_sub_f32_e32 v17, v1, v7
	v_fma_f32 v14, v0, 2.0, -v16
	v_sub_f32_e32 v6, v4, v12
	v_sub_f32_e32 v7, v5, v13
	v_lshlrev_b32_e32 v0, 1, v58
	v_fma_f32 v15, v1, 2.0, -v17
	v_sub_f32_e32 v20, v2, v10
	v_sub_f32_e32 v21, v3, v11
	v_fma_f32 v4, v4, 2.0, -v6
	v_fma_f32 v5, v5, 2.0, -v7
	v_lshlrev_b32_e32 v1, 3, v0
	v_fma_f32 v18, v2, 2.0, -v20
	v_fma_f32 v19, v3, 2.0, -v21
	ds_write_b128 v60, v[14:17]
	ds_write_b128 v60, v[18:21] offset:3584
	ds_write_b128 v1, v[4:7] offset:7168
	v_and_b32_e32 v1, 1, v58
	v_lshlrev_b32_e32 v2, 3, v1
	s_waitcnt lgkmcnt(0)
	s_barrier
	global_load_dwordx2 v[45:46], v2, s[14:15]
	v_and_or_b32 v2, v0, s0, v1
	v_lshlrev_b32_e32 v18, 1, v78
	v_add_u32_e32 v79, 0x380, v0
	v_lshlrev_b32_e32 v63, 3, v2
	v_and_or_b32 v2, v18, s1, v1
	v_and_or_b32 v1, v79, s2, v1
	v_lshlrev_b32_e32 v62, 3, v2
	v_lshlrev_b32_e32 v61, 3, v1
	ds_read2_b64 v[1:4], v8 offset1:224
	ds_read2_b64 v[10:13], v9 offset1:224
	ds_read2_b64 v[14:17], v57 offset1:224
	v_and_b32_e32 v7, 3, v58
	v_lshlrev_b32_e32 v19, 3, v7
	s_waitcnt vmcnt(0) lgkmcnt(0)
	s_barrier
	s_movk_i32 s0, 0x1f8
	s_movk_i32 s1, 0x3f8
	s_movk_i32 s2, 0x7f8
	v_mul_f32_e32 v5, v2, v46
	v_mul_f32_e32 v22, v13, v46
	v_mul_f32_e32 v23, v12, v46
	v_mul_f32_e32 v6, v1, v46
	v_mul_f32_e32 v20, v4, v46
	v_mul_f32_e32 v21, v3, v46
	v_fma_f32 v5, v1, v45, -v5
	v_fma_f32 v1, v12, v45, -v22
	v_fmac_f32_e32 v23, v13, v45
	v_fmac_f32_e32 v6, v2, v45
	v_fma_f32 v20, v3, v45, -v20
	v_fmac_f32_e32 v21, v4, v45
	v_sub_f32_e32 v1, v14, v1
	v_sub_f32_e32 v2, v15, v23
	v_sub_f32_e32 v3, v16, v5
	v_sub_f32_e32 v4, v17, v6
	v_sub_f32_e32 v5, v10, v20
	v_sub_f32_e32 v6, v11, v21
	v_fma_f32 v12, v14, 2.0, -v1
	v_fma_f32 v13, v15, 2.0, -v2
	v_fma_f32 v14, v16, 2.0, -v3
	v_fma_f32 v15, v17, 2.0, -v4
	v_fma_f32 v10, v10, 2.0, -v5
	v_fma_f32 v11, v11, 2.0, -v6
	ds_write2_b64 v63, v[12:13], v[1:2] offset1:2
	ds_write2_b64 v62, v[14:15], v[3:4] offset1:2
	ds_write2_b64 v61, v[10:11], v[5:6] offset1:2
	s_waitcnt lgkmcnt(0)
	s_barrier
	global_load_dwordx2 v[47:48], v19, s[14:15] offset:16
	v_and_or_b32 v1, v0, s0, v7
	v_lshlrev_b32_e32 v66, 3, v1
	v_and_or_b32 v1, v18, s1, v7
	v_and_or_b32 v2, v79, s2, v7
	v_lshlrev_b32_e32 v65, 3, v1
	v_lshlrev_b32_e32 v64, 3, v2
	ds_read2_b64 v[1:4], v8 offset1:224
	ds_read2_b64 v[10:13], v9 offset1:224
	ds_read2_b64 v[14:17], v57 offset1:224
	v_and_b32_e32 v19, 7, v58
	v_lshlrev_b32_e32 v20, 3, v19
	s_waitcnt vmcnt(0) lgkmcnt(0)
	s_barrier
	s_movk_i32 s0, 0x1f0
	s_movk_i32 s1, 0x3f0
	s_movk_i32 s2, 0x7f0
	v_mul_f32_e32 v5, v2, v48
	v_mul_f32_e32 v22, v13, v48
	v_mul_f32_e32 v23, v12, v48
	v_mul_f32_e32 v6, v1, v48
	v_mul_f32_e32 v7, v4, v48
	v_mul_f32_e32 v21, v3, v48
	v_fma_f32 v5, v1, v47, -v5
	v_fma_f32 v1, v12, v47, -v22
	v_fmac_f32_e32 v23, v13, v47
	v_fmac_f32_e32 v6, v2, v47
	v_fma_f32 v7, v3, v47, -v7
	v_fmac_f32_e32 v21, v4, v47
	v_sub_f32_e32 v1, v14, v1
	v_sub_f32_e32 v2, v15, v23
	v_sub_f32_e32 v3, v16, v5
	v_sub_f32_e32 v4, v17, v6
	v_sub_f32_e32 v5, v10, v7
	v_sub_f32_e32 v6, v11, v21
	v_fma_f32 v12, v14, 2.0, -v1
	v_fma_f32 v13, v15, 2.0, -v2
	v_fma_f32 v14, v16, 2.0, -v3
	v_fma_f32 v15, v17, 2.0, -v4
	v_fma_f32 v10, v10, 2.0, -v5
	v_fma_f32 v11, v11, 2.0, -v6
	ds_write2_b64 v66, v[12:13], v[1:2] offset1:4
	ds_write2_b64 v65, v[14:15], v[3:4] offset1:4
	ds_write2_b64 v64, v[10:11], v[5:6] offset1:4
	s_waitcnt lgkmcnt(0)
	s_barrier
	global_load_dwordx2 v[49:50], v20, s[14:15] offset:48
	v_and_or_b32 v1, v0, s0, v19
	;; [unrolled: 46-line block ×3, first 2 shown]
	v_lshlrev_b32_e32 v72, 3, v1
	v_and_or_b32 v1, v18, s1, v7
	v_and_or_b32 v2, v79, s2, v7
	v_lshlrev_b32_e32 v71, 3, v1
	v_lshlrev_b32_e32 v70, 3, v2
	ds_read2_b64 v[1:4], v8 offset1:224
	ds_read2_b64 v[10:13], v9 offset1:224
	;; [unrolled: 1-line block ×3, first 2 shown]
	v_and_b32_e32 v19, 31, v58
	v_lshlrev_b32_e32 v20, 3, v19
	s_waitcnt vmcnt(0) lgkmcnt(0)
	s_barrier
	s_movk_i32 s0, 0x1c0
	s_movk_i32 s1, 0x3c0
	;; [unrolled: 1-line block ×3, first 2 shown]
	v_and_or_b32 v0, v0, s0, v19
	v_lshlrev_b32_e32 v75, 3, v0
	v_and_or_b32 v0, v18, s1, v19
	v_lshlrev_b32_e32 v74, 3, v0
	s_movk_i32 s0, 0xc0
	v_cmp_gt_u16_e64 s[0:1], s0, v58
	v_mul_f32_e32 v5, v2, v52
	v_mul_f32_e32 v22, v13, v52
	;; [unrolled: 1-line block ×6, first 2 shown]
	v_fma_f32 v5, v1, v51, -v5
	v_fma_f32 v1, v12, v51, -v22
	v_fmac_f32_e32 v23, v13, v51
	v_fmac_f32_e32 v6, v2, v51
	v_fma_f32 v7, v3, v51, -v7
	v_fmac_f32_e32 v21, v4, v51
	v_sub_f32_e32 v1, v14, v1
	v_sub_f32_e32 v2, v15, v23
	;; [unrolled: 1-line block ×6, first 2 shown]
	v_fma_f32 v12, v14, 2.0, -v1
	v_fma_f32 v13, v15, 2.0, -v2
	;; [unrolled: 1-line block ×6, first 2 shown]
	ds_write2_b64 v72, v[12:13], v[1:2] offset1:16
	ds_write2_b64 v71, v[14:15], v[3:4] offset1:16
	;; [unrolled: 1-line block ×3, first 2 shown]
	s_waitcnt lgkmcnt(0)
	s_barrier
	global_load_dwordx2 v[53:54], v20, s[14:15] offset:240
	v_and_or_b32 v1, v79, s2, v19
	v_lshlrev_b32_e32 v73, 3, v1
	ds_read2_b64 v[0:3], v8 offset1:224
	ds_read2_b64 v[4:7], v9 offset1:224
	;; [unrolled: 1-line block ×3, first 2 shown]
	v_and_b32_e32 v14, 63, v58
	v_and_b32_e32 v16, 63, v78
	v_lshlrev_b32_e32 v15, 4, v14
	s_waitcnt vmcnt(0) lgkmcnt(0)
	s_barrier
	v_mul_f32_e32 v17, v1, v54
	v_mul_f32_e32 v21, v7, v54
	;; [unrolled: 1-line block ×6, first 2 shown]
	v_fma_f32 v17, v0, v53, -v17
	v_fma_f32 v0, v6, v53, -v21
	v_fmac_f32_e32 v22, v7, v53
	v_fmac_f32_e32 v18, v1, v53
	v_fma_f32 v19, v2, v53, -v19
	v_fmac_f32_e32 v20, v3, v53
	v_sub_f32_e32 v0, v10, v0
	v_sub_f32_e32 v1, v11, v22
	;; [unrolled: 1-line block ×6, first 2 shown]
	v_fma_f32 v10, v10, 2.0, -v0
	v_fma_f32 v11, v11, 2.0, -v1
	;; [unrolled: 1-line block ×6, first 2 shown]
	ds_write2_b64 v75, v[10:11], v[0:1] offset1:32
	ds_write2_b64 v74, v[12:13], v[2:3] offset1:32
	;; [unrolled: 1-line block ×3, first 2 shown]
	v_lshlrev_b32_e32 v0, 4, v16
	s_waitcnt lgkmcnt(0)
	s_barrier
	global_load_dwordx4 v[4:7], v15, s[14:15] offset:496
	v_lshrrev_b32_e32 v10, 6, v58
	global_load_dwordx4 v[0:3], v0, s[14:15] offset:496
	v_lshrrev_b32_e32 v11, 6, v78
	v_mul_u32_u24_e32 v10, 0xc0, v10
	v_mul_u32_u24_e32 v11, 0xc0, v11
	v_or_b32_e32 v10, v10, v14
	v_or_b32_e32 v11, v11, v16
	v_lshlrev_b32_e32 v77, 3, v10
	v_lshlrev_b32_e32 v76, 3, v11
	ds_read2_b64 v[9:12], v9 offset1:224
	ds_read2_b64 v[13:16], v8 offset1:224
	;; [unrolled: 1-line block ×3, first 2 shown]
	s_waitcnt vmcnt(0) lgkmcnt(0)
	s_barrier
	v_mul_f32_e32 v8, v10, v5
	v_mul_f32_e32 v17, v9, v5
	;; [unrolled: 1-line block ×8, first 2 shown]
	v_fma_f32 v8, v9, v4, -v8
	v_fmac_f32_e32 v17, v10, v4
	v_fma_f32 v9, v11, v0, -v18
	v_fmac_f32_e32 v19, v12, v0
	;; [unrolled: 2-line block ×4, first 2 shown]
	v_sub_f32_e32 v12, v17, v21
	v_add_f32_e32 v13, v25, v17
	v_add_f32_e32 v14, v17, v21
	;; [unrolled: 1-line block ×3, first 2 shown]
	v_sub_f32_e32 v17, v19, v23
	v_add_f32_e32 v18, v27, v19
	v_add_f32_e32 v19, v19, v23
	;; [unrolled: 1-line block ×4, first 2 shown]
	v_fma_f32 v28, -0.5, v16, v24
	v_fma_f32 v29, -0.5, v14, v25
	;; [unrolled: 1-line block ×3, first 2 shown]
	v_fmac_f32_e32 v27, -0.5, v19
	v_add_f32_e32 v15, v24, v8
	v_sub_f32_e32 v8, v8, v10
	v_sub_f32_e32 v9, v9, v11
	v_add_f32_e32 v31, v18, v23
	v_add_f32_e32 v30, v22, v11
	v_mov_b32_e32 v22, v28
	v_mov_b32_e32 v23, v29
	;; [unrolled: 1-line block ×4, first 2 shown]
	v_add_f32_e32 v21, v13, v21
	v_add_f32_e32 v20, v15, v10
	v_fmac_f32_e32 v28, 0xbf5db3d7, v12
	v_fmac_f32_e32 v29, 0x3f5db3d7, v8
	;; [unrolled: 1-line block ×8, first 2 shown]
	ds_write_b64 v77, v[28:29] offset:1024
	ds_write2st64_b64 v77, v[20:21], v[22:23] offset1:1
	ds_write2st64_b64 v76, v[30:31], v[24:25] offset1:1
	ds_write_b64 v76, v[26:27] offset:1024
	s_waitcnt lgkmcnt(0)
	s_barrier
	s_waitcnt lgkmcnt(0)
                                        ; implicit-def: $vgpr55
	s_and_saveexec_b64 s[2:3], s[0:1]
	s_cbranch_execz .LBB0_3
; %bb.2:
	ds_read2st64_b64 v[20:23], v57 offset1:3
	ds_read2st64_b64 v[28:31], v57 offset0:6 offset1:9
	ds_read2st64_b64 v[24:27], v57 offset0:12 offset1:15
	ds_read_b64 v[55:56], v57 offset:9216
.LBB0_3:
	s_or_b64 exec, exec, s[2:3]
	v_add_u32_e32 v8, 0xffffff40, v58
	v_cndmask_b32_e64 v8, v8, v58, s[0:1]
	v_mul_hi_i32_i24_e32 v9, 48, v8
	v_mul_i32_i24_e32 v8, 48, v8
	v_mov_b32_e32 v10, s15
	v_add_co_u32_e64 v80, s[2:3], s14, v8
	v_addc_co_u32_e64 v81, s[2:3], v10, v9, s[2:3]
	global_load_dwordx4 v[8:11], v[80:81], off offset:1520
	global_load_dwordx4 v[16:19], v[80:81], off offset:1536
	;; [unrolled: 1-line block ×3, first 2 shown]
	v_lshlrev_b32_e32 v80, 4, v78
	v_lshlrev_b32_e32 v78, 3, v79
	s_waitcnt vmcnt(2) lgkmcnt(3)
	v_mul_f32_e32 v79, v23, v9
	v_mul_f32_e32 v81, v22, v9
	s_waitcnt lgkmcnt(2)
	v_mul_f32_e32 v82, v29, v11
	v_mul_f32_e32 v83, v28, v11
	s_waitcnt vmcnt(1) lgkmcnt(1)
	v_mul_f32_e32 v87, v24, v19
	s_waitcnt vmcnt(0)
	v_mul_f32_e32 v88, v27, v13
	v_mul_f32_e32 v89, v26, v13
	s_waitcnt lgkmcnt(0)
	v_mul_f32_e32 v90, v56, v15
	v_mul_f32_e32 v91, v55, v15
	v_mul_f32_e32 v84, v31, v17
	v_mul_f32_e32 v85, v30, v17
	v_mul_f32_e32 v86, v25, v19
	v_fma_f32 v79, v22, v8, -v79
	v_fmac_f32_e32 v81, v23, v8
	v_fma_f32 v82, v28, v10, -v82
	v_fmac_f32_e32 v83, v29, v10
	v_fmac_f32_e32 v87, v25, v18
	v_fma_f32 v25, v26, v12, -v88
	v_fmac_f32_e32 v89, v27, v12
	v_fma_f32 v23, v55, v14, -v90
	;; [unrolled: 2-line block ×4, first 2 shown]
	v_add_f32_e32 v22, v79, v23
	v_add_f32_e32 v28, v81, v91
	;; [unrolled: 1-line block ×4, first 2 shown]
	v_sub_f32_e32 v30, v79, v23
	v_sub_f32_e32 v23, v81, v91
	;; [unrolled: 1-line block ×4, first 2 shown]
	v_add_f32_e32 v25, v84, v24
	v_add_f32_e32 v55, v85, v87
	v_sub_f32_e32 v24, v24, v84
	v_sub_f32_e32 v56, v87, v85
	v_add_f32_e32 v79, v26, v22
	v_add_f32_e32 v81, v29, v28
	v_sub_f32_e32 v82, v22, v25
	v_sub_f32_e32 v87, v28, v55
	;; [unrolled: 1-line block ×3, first 2 shown]
	v_add_f32_e32 v88, v24, v31
	v_add_f32_e32 v89, v56, v27
	v_sub_f32_e32 v85, v24, v31
	v_sub_f32_e32 v86, v56, v27
	;; [unrolled: 1-line block ×4, first 2 shown]
	v_add_f32_e32 v25, v25, v79
	v_add_f32_e32 v91, v55, v81
	;; [unrolled: 1-line block ×3, first 2 shown]
	v_mul_f32_e32 v79, 0x3f4a47b2, v82
	v_mul_f32_e32 v87, 0x3f4a47b2, v87
	;; [unrolled: 1-line block ×4, first 2 shown]
	v_add_f32_e32 v20, v20, v25
	v_add_f32_e32 v21, v21, v91
	v_sub_f32_e32 v84, v55, v29
	v_mov_b32_e32 v24, v79
	v_mov_b32_e32 v94, v87
	;; [unrolled: 1-line block ×6, first 2 shown]
	v_add_f32_e32 v92, v88, v30
	v_fmac_f32_e32 v24, 0x3d64c772, v83
	v_fmac_f32_e32 v94, 0x3d64c772, v84
	;; [unrolled: 1-line block ×8, first 2 shown]
	v_add_f32_e32 v88, v24, v82
	v_add_f32_e32 v91, v94, v90
	v_sub_f32_e32 v24, v88, v56
	v_add_f32_e32 v25, v55, v91
	s_and_saveexec_b64 s[2:3], s[0:1]
	s_cbranch_execz .LBB0_5
; %bb.4:
	s_mov_b32 s7, 0xbf3bfb3b
	v_sub_f32_e32 v22, v26, v22
	v_sub_f32_e32 v30, v31, v30
	s_mov_b32 s6, 0xbf5ff5aa
	v_fma_f32 v26, v22, s7, -v79
	v_sub_f32_e32 v79, v27, v23
	v_mul_f32_e32 v84, 0x3d64c772, v84
	v_mul_f32_e32 v93, 0x3ee1c552, v93
	v_fma_f32 v31, v30, s6, -v89
	v_sub_f32_e32 v29, v29, v28
	v_fma_f32 v23, v79, s6, -v81
	s_mov_b32 s6, 0x3f3bfb3b
	v_mul_f32_e32 v83, 0x3d64c772, v83
	v_mul_f32_e32 v85, 0xbf08b237, v85
	;; [unrolled: 1-line block ×3, first 2 shown]
	v_fma_f32 v28, v29, s7, -v87
	v_add_f32_e32 v81, v93, v23
	v_fma_f32 v23, v29, s6, -v84
	s_mov_b32 s7, 0x3f5ff5aa
	v_mul_f32_e32 v92, 0x3ee1c552, v92
	v_add_f32_e32 v29, v23, v90
	v_fma_f32 v23, v30, s7, -v85
	v_fma_f32 v79, v79, s7, -v86
	v_fma_f32 v22, v22, s6, -v83
	v_add_f32_e32 v31, v92, v31
	v_add_f32_e32 v87, v28, v90
	;; [unrolled: 1-line block ×6, first 2 shown]
	v_sub_f32_e32 v84, v91, v55
	v_add_f32_e32 v83, v56, v88
	v_add_f32_e32 v28, v31, v87
	v_sub_f32_e32 v27, v26, v81
	v_sub_f32_e32 v23, v29, v30
	v_add_f32_e32 v22, v79, v82
	v_add_f32_e32 v30, v30, v29
	v_sub_f32_e32 v29, v82, v79
	v_sub_f32_e32 v82, v87, v31
	v_add_f32_e32 v81, v81, v26
	ds_write2st64_b64 v57, v[20:21], v[83:84] offset1:3
	ds_write2st64_b64 v57, v[81:82], v[29:30] offset0:6 offset1:9
	ds_write2st64_b64 v57, v[22:23], v[27:28] offset0:12 offset1:15
	ds_write_b64 v57, v[24:25] offset:9216
.LBB0_5:
	s_or_b64 exec, exec, s[2:3]
	v_mov_b32_e32 v20, s13
	v_addc_co_u32_e32 v28, vcc, 0, v20, vcc
	v_add_co_u32_e32 v20, vcc, 0x2a00, v59
	v_addc_co_u32_e32 v21, vcc, 0, v28, vcc
	v_add_co_u32_e32 v22, vcc, 0x2000, v59
	v_addc_co_u32_e32 v23, vcc, 0, v28, vcc
	s_waitcnt lgkmcnt(0)
	s_barrier
	global_load_dwordx2 v[26:27], v[22:23], off offset:2560
	global_load_dwordx2 v[30:31], v[20:21], off offset:1792
	v_add_co_u32_e32 v22, vcc, 0x3000, v59
	v_addc_co_u32_e32 v23, vcc, 0, v28, vcc
	s_movk_i32 s2, 0x4000
	global_load_dwordx2 v[55:56], v[22:23], off offset:3840
	v_add_co_u32_e32 v22, vcc, s2, v59
	v_addc_co_u32_e32 v23, vcc, 0, v28, vcc
	global_load_dwordx2 v[85:86], v[22:23], off offset:1536
	global_load_dwordx2 v[87:88], v[20:21], off offset:3584
	;; [unrolled: 1-line block ×3, first 2 shown]
	ds_read2_b64 v[20:23], v57 offset1:224
	v_add_u32_e32 v91, 0xe00, v57
	v_add_u32_e32 v92, 0x1c00, v57
	;; [unrolled: 1-line block ×4, first 2 shown]
	s_waitcnt vmcnt(5) lgkmcnt(0)
	v_mul_f32_e32 v29, v21, v27
	v_mul_f32_e32 v28, v20, v27
	v_fma_f32 v27, v20, v26, -v29
	v_fmac_f32_e32 v28, v21, v26
	ds_write_b64 v57, v[27:28]
	ds_read2_b64 v[26:29], v91 offset1:224
	ds_read2_b64 v[81:84], v92 offset1:224
	s_waitcnt vmcnt(4)
	v_mul_f32_e32 v93, v23, v31
	v_mul_f32_e32 v21, v22, v31
	v_fma_f32 v20, v22, v30, -v93
	v_fmac_f32_e32 v21, v23, v30
	s_waitcnt vmcnt(3) lgkmcnt(1)
	v_mul_f32_e32 v22, v29, v56
	v_mul_f32_e32 v23, v28, v56
	s_waitcnt vmcnt(2) lgkmcnt(0)
	v_mul_f32_e32 v31, v82, v86
	v_mul_f32_e32 v30, v81, v86
	s_waitcnt vmcnt(1)
	v_mul_f32_e32 v93, v27, v88
	v_mul_f32_e32 v56, v26, v88
	s_waitcnt vmcnt(0)
	v_mul_f32_e32 v88, v84, v90
	v_mul_f32_e32 v86, v83, v90
	v_fma_f32 v22, v28, v55, -v22
	v_fmac_f32_e32 v23, v29, v55
	v_fma_f32 v29, v81, v85, -v31
	v_fmac_f32_e32 v30, v82, v85
	;; [unrolled: 2-line block ×4, first 2 shown]
	ds_write2_b64 v59, v[22:23], v[29:30] offset1:224
	ds_write2_b64 v79, v[20:21], v[55:56] offset1:224
	ds_write_b64 v57, v[85:86] offset:8960
	s_waitcnt lgkmcnt(0)
	s_barrier
	ds_read2_b64 v[20:23], v57 offset1:224
	ds_read2_b64 v[26:29], v91 offset1:224
	ds_read2_b64 v[81:84], v92 offset1:224
	s_waitcnt lgkmcnt(0)
	s_barrier
	v_sub_f32_e32 v30, v20, v28
	v_sub_f32_e32 v31, v21, v29
	;; [unrolled: 1-line block ×6, first 2 shown]
	v_fma_f32 v28, v20, 2.0, -v30
	v_fma_f32 v29, v21, 2.0, -v31
	;; [unrolled: 1-line block ×6, first 2 shown]
	ds_write_b128 v60, v[28:31]
	ds_write_b128 v80, v[83:86]
	;; [unrolled: 1-line block ×3, first 2 shown]
	s_waitcnt lgkmcnt(0)
	s_barrier
	ds_read2_b64 v[20:23], v91 offset1:224
	ds_read2_b64 v[26:29], v92 offset1:224
	ds_read2_b64 v[78:81], v57 offset1:224
	s_waitcnt lgkmcnt(0)
	s_barrier
	v_mul_f32_e32 v30, v46, v23
	v_mul_f32_e32 v31, v46, v22
	;; [unrolled: 1-line block ×3, first 2 shown]
	v_fmac_f32_e32 v30, v45, v22
	v_mul_f32_e32 v22, v46, v28
	v_mul_f32_e32 v55, v46, v27
	v_mul_f32_e32 v56, v46, v26
	v_fma_f32 v23, v45, v23, -v31
	v_fmac_f32_e32 v59, v45, v28
	v_fma_f32 v46, v45, v29, -v22
	v_fmac_f32_e32 v55, v45, v26
	v_fma_f32 v31, v45, v27, -v56
	v_sub_f32_e32 v22, v78, v30
	v_sub_f32_e32 v23, v79, v23
	;; [unrolled: 1-line block ×4, first 2 shown]
	v_fma_f32 v26, v78, 2.0, -v22
	v_fma_f32 v27, v79, 2.0, -v23
	v_sub_f32_e32 v28, v80, v55
	v_sub_f32_e32 v29, v81, v31
	v_fma_f32 v20, v20, 2.0, -v45
	v_fma_f32 v21, v21, 2.0, -v46
	;; [unrolled: 1-line block ×4, first 2 shown]
	ds_write2_b64 v63, v[26:27], v[22:23] offset1:2
	ds_write2_b64 v62, v[30:31], v[28:29] offset1:2
	;; [unrolled: 1-line block ×3, first 2 shown]
	s_waitcnt lgkmcnt(0)
	s_barrier
	ds_read2_b64 v[20:23], v91 offset1:224
	ds_read2_b64 v[26:29], v57 offset1:224
	;; [unrolled: 1-line block ×3, first 2 shown]
	s_waitcnt lgkmcnt(0)
	s_barrier
	v_mul_f32_e32 v30, v48, v23
	v_fmac_f32_e32 v30, v47, v22
	v_mul_f32_e32 v22, v48, v22
	v_fma_f32 v23, v47, v23, -v22
	v_mul_f32_e32 v22, v48, v59
	v_mul_f32_e32 v31, v48, v60
	v_fma_f32 v45, v47, v60, -v22
	v_mul_f32_e32 v46, v48, v62
	v_mul_f32_e32 v22, v48, v61
	v_fmac_f32_e32 v31, v47, v59
	v_fmac_f32_e32 v46, v47, v61
	v_fma_f32 v47, v47, v62, -v22
	v_sub_f32_e32 v22, v26, v30
	v_sub_f32_e32 v23, v27, v23
	v_sub_f32_e32 v30, v28, v31
	v_sub_f32_e32 v31, v29, v45
	v_sub_f32_e32 v45, v20, v46
	v_sub_f32_e32 v46, v21, v47
	v_fma_f32 v26, v26, 2.0, -v22
	v_fma_f32 v27, v27, 2.0, -v23
	v_fma_f32 v28, v28, 2.0, -v30
	v_fma_f32 v29, v29, 2.0, -v31
	v_fma_f32 v20, v20, 2.0, -v45
	v_fma_f32 v21, v21, 2.0, -v46
	ds_write2_b64 v66, v[26:27], v[22:23] offset1:4
	ds_write2_b64 v65, v[28:29], v[30:31] offset1:4
	ds_write2_b64 v64, v[20:21], v[45:46] offset1:4
	s_waitcnt lgkmcnt(0)
	s_barrier
	ds_read2_b64 v[20:23], v91 offset1:224
	ds_read2_b64 v[26:29], v57 offset1:224
	ds_read2_b64 v[45:48], v92 offset1:224
	s_waitcnt lgkmcnt(0)
	s_barrier
	v_mul_f32_e32 v30, v50, v23
	v_fmac_f32_e32 v30, v49, v22
	v_mul_f32_e32 v22, v50, v22
	v_fma_f32 v23, v49, v23, -v22
	v_mul_f32_e32 v31, v50, v46
	v_mul_f32_e32 v22, v50, v45
	v_fmac_f32_e32 v31, v49, v45
	v_fma_f32 v45, v49, v46, -v22
	v_mul_f32_e32 v46, v50, v48
	v_mul_f32_e32 v22, v50, v47
	v_fmac_f32_e32 v46, v49, v47
	v_fma_f32 v47, v49, v48, -v22
	v_sub_f32_e32 v22, v26, v30
	v_sub_f32_e32 v23, v27, v23
	v_sub_f32_e32 v30, v28, v31
	v_sub_f32_e32 v31, v29, v45
	v_sub_f32_e32 v45, v20, v46
	v_sub_f32_e32 v46, v21, v47
	v_fma_f32 v26, v26, 2.0, -v22
	v_fma_f32 v27, v27, 2.0, -v23
	v_fma_f32 v28, v28, 2.0, -v30
	v_fma_f32 v29, v29, 2.0, -v31
	v_fma_f32 v20, v20, 2.0, -v45
	v_fma_f32 v21, v21, 2.0, -v46
	ds_write2_b64 v69, v[26:27], v[22:23] offset1:8
	ds_write2_b64 v68, v[28:29], v[30:31] offset1:8
	ds_write2_b64 v67, v[20:21], v[45:46] offset1:8
	s_waitcnt lgkmcnt(0)
	s_barrier
	ds_read2_b64 v[20:23], v91 offset1:224
	ds_read2_b64 v[26:29], v57 offset1:224
	ds_read2_b64 v[45:48], v92 offset1:224
	s_waitcnt lgkmcnt(0)
	s_barrier
	v_mul_f32_e32 v30, v52, v23
	v_fmac_f32_e32 v30, v51, v22
	v_mul_f32_e32 v22, v52, v22
	v_fma_f32 v23, v51, v23, -v22
	v_mul_f32_e32 v31, v52, v46
	v_mul_f32_e32 v22, v52, v45
	v_fmac_f32_e32 v31, v51, v45
	v_fma_f32 v45, v51, v46, -v22
	v_mul_f32_e32 v46, v52, v48
	v_mul_f32_e32 v22, v52, v47
	;; [unrolled: 34-line block ×3, first 2 shown]
	v_fmac_f32_e32 v46, v53, v47
	v_fma_f32 v47, v53, v48, -v22
	v_sub_f32_e32 v22, v26, v30
	v_sub_f32_e32 v23, v27, v23
	v_sub_f32_e32 v30, v28, v31
	v_sub_f32_e32 v31, v29, v45
	v_sub_f32_e32 v45, v20, v46
	v_sub_f32_e32 v46, v21, v47
	v_fma_f32 v26, v26, 2.0, -v22
	v_fma_f32 v27, v27, 2.0, -v23
	;; [unrolled: 1-line block ×6, first 2 shown]
	ds_write2_b64 v75, v[26:27], v[22:23] offset1:32
	ds_write2_b64 v74, v[28:29], v[30:31] offset1:32
	;; [unrolled: 1-line block ×3, first 2 shown]
	s_waitcnt lgkmcnt(0)
	s_barrier
	ds_read2_b64 v[26:29], v91 offset1:224
	ds_read2_b64 v[20:23], v57 offset1:224
	;; [unrolled: 1-line block ×3, first 2 shown]
	s_waitcnt lgkmcnt(0)
	s_barrier
	v_mul_f32_e32 v30, v5, v27
	v_fmac_f32_e32 v30, v4, v26
	v_mul_f32_e32 v5, v5, v26
	v_mul_f32_e32 v26, v7, v46
	v_fma_f32 v5, v4, v27, -v5
	v_fmac_f32_e32 v26, v6, v45
	v_mul_f32_e32 v27, v1, v29
	v_mul_f32_e32 v1, v1, v28
	;; [unrolled: 1-line block ×3, first 2 shown]
	v_fmac_f32_e32 v27, v0, v28
	v_fma_f32 v28, v0, v29, -v1
	v_add_f32_e32 v1, v30, v26
	v_fma_f32 v6, v6, v46, -v4
	v_mul_f32_e32 v29, v3, v48
	v_mul_f32_e32 v0, v3, v47
	v_fma_f32 v4, -0.5, v1, v20
	v_fmac_f32_e32 v29, v2, v47
	v_fma_f32 v31, v2, v48, -v0
	v_sub_f32_e32 v1, v5, v6
	v_mov_b32_e32 v2, v4
	v_add_f32_e32 v3, v5, v6
	v_fmac_f32_e32 v2, 0xbf5db3d7, v1
	v_fmac_f32_e32 v4, 0x3f5db3d7, v1
	v_add_f32_e32 v1, v21, v5
	v_fma_f32 v5, -0.5, v3, v21
	v_add_f32_e32 v1, v1, v6
	v_sub_f32_e32 v6, v30, v26
	v_mov_b32_e32 v3, v5
	v_add_f32_e32 v7, v27, v29
	v_fmac_f32_e32 v3, 0x3f5db3d7, v6
	v_fmac_f32_e32 v5, 0xbf5db3d7, v6
	v_add_f32_e32 v6, v22, v27
	v_fma_f32 v22, -0.5, v7, v22
	v_add_f32_e32 v0, v20, v30
	v_sub_f32_e32 v7, v28, v31
	v_mov_b32_e32 v20, v22
	v_add_f32_e32 v21, v28, v31
	v_fmac_f32_e32 v20, 0xbf5db3d7, v7
	v_fmac_f32_e32 v22, 0x3f5db3d7, v7
	v_add_f32_e32 v7, v23, v28
	v_fmac_f32_e32 v23, -0.5, v21
	v_add_f32_e32 v0, v0, v26
	v_sub_f32_e32 v26, v27, v29
	v_mov_b32_e32 v21, v23
	v_add_f32_e32 v6, v6, v29
	v_add_f32_e32 v7, v7, v31
	v_fmac_f32_e32 v21, 0x3f5db3d7, v26
	v_fmac_f32_e32 v23, 0xbf5db3d7, v26
	ds_write2st64_b64 v77, v[0:1], v[2:3] offset1:1
	ds_write_b64 v77, v[4:5] offset:1024
	ds_write2st64_b64 v76, v[6:7], v[20:21] offset1:1
	ds_write_b64 v76, v[22:23] offset:1024
	s_waitcnt lgkmcnt(0)
	s_barrier
	s_and_saveexec_b64 s[2:3], s[0:1]
	s_cbranch_execz .LBB0_7
; %bb.6:
	ds_read2st64_b64 v[0:3], v57 offset1:3
	ds_read2st64_b64 v[4:7], v57 offset0:6 offset1:9
	ds_read2st64_b64 v[20:23], v57 offset0:12 offset1:15
	ds_read_b64 v[24:25], v57 offset:9216
.LBB0_7:
	s_or_b64 exec, exec, s[2:3]
	s_and_saveexec_b64 s[2:3], s[0:1]
	s_cbranch_execz .LBB0_9
; %bb.8:
	s_waitcnt lgkmcnt(3)
	v_mul_f32_e32 v26, v9, v3
	v_fmac_f32_e32 v26, v8, v2
	s_waitcnt lgkmcnt(0)
	v_mul_f32_e32 v27, v15, v25
	v_mul_f32_e32 v29, v19, v21
	;; [unrolled: 1-line block ×4, first 2 shown]
	v_fmac_f32_e32 v27, v14, v24
	v_fmac_f32_e32 v29, v18, v20
	;; [unrolled: 1-line block ×3, first 2 shown]
	v_mul_f32_e32 v15, v15, v24
	v_fma_f32 v2, v8, v3, -v2
	v_mul_f32_e32 v3, v17, v6
	v_mul_f32_e32 v46, v11, v5
	;; [unrolled: 1-line block ×3, first 2 shown]
	v_fma_f32 v14, v14, v25, -v15
	v_fma_f32 v6, v16, v7, -v3
	v_mul_f32_e32 v3, v19, v20
	v_add_f32_e32 v15, v27, v26
	v_add_f32_e32 v16, v30, v29
	v_fmac_f32_e32 v46, v10, v4
	v_fmac_f32_e32 v47, v12, v22
	v_fma_f32 v7, v18, v21, -v3
	v_sub_f32_e32 v17, v15, v16
	v_add_f32_e32 v8, v14, v2
	v_add_f32_e32 v3, v6, v7
	v_mul_f32_e32 v13, v13, v22
	v_mul_f32_e32 v4, v11, v4
	v_mul_f32_e32 v17, 0x3f4a47b2, v17
	v_add_f32_e32 v18, v47, v46
	v_sub_f32_e32 v9, v8, v3
	v_fma_f32 v12, v12, v23, -v13
	v_fma_f32 v4, v10, v5, -v4
	v_sub_f32_e32 v19, v16, v18
	v_mov_b32_e32 v21, v17
	v_mul_f32_e32 v9, 0x3f4a47b2, v9
	v_add_f32_e32 v5, v12, v4
	v_mul_f32_e32 v20, 0x3d64c772, v19
	v_fmac_f32_e32 v21, 0x3d64c772, v19
	v_add_f32_e32 v19, v18, v15
	v_sub_f32_e32 v10, v3, v5
	v_mov_b32_e32 v13, v9
	v_add_f32_e32 v16, v16, v19
	v_sub_f32_e32 v14, v2, v14
	v_sub_f32_e32 v2, v7, v6
	;; [unrolled: 1-line block ×5, first 2 shown]
	v_mul_f32_e32 v11, 0x3d64c772, v10
	v_fmac_f32_e32 v13, 0x3d64c772, v10
	v_add_f32_e32 v10, v5, v8
	v_add_f32_e32 v0, v0, v16
	v_sub_f32_e32 v6, v14, v2
	v_sub_f32_e32 v7, v2, v4
	v_add_f32_e32 v2, v2, v4
	v_sub_f32_e32 v31, v29, v30
	v_add_f32_e32 v3, v3, v10
	v_mov_b32_e32 v19, v0
	v_mul_f32_e32 v12, 0x3f08b237, v7
	v_add_f32_e32 v22, v2, v14
	v_sub_f32_e32 v7, v48, v28
	v_sub_f32_e32 v8, v5, v8
	s_mov_b32 s6, 0xbf3bfb3b
	v_sub_f32_e32 v14, v4, v14
	v_sub_f32_e32 v45, v28, v31
	;; [unrolled: 1-line block ×3, first 2 shown]
	v_add_f32_e32 v1, v1, v3
	v_fmac_f32_e32 v19, 0xbf955555, v16
	v_mul_f32_e32 v23, 0xbf5ff5aa, v7
	s_mov_b32 s1, 0x3eae86e6
	v_fma_f32 v5, v8, s6, -v9
	v_sub_f32_e32 v9, v18, v15
	v_mul_f32_e32 v4, 0xbf5ff5aa, v14
	v_mul_f32_e32 v49, 0x3f08b237, v49
	v_mov_b32_e32 v10, v1
	v_add_f32_e32 v16, v21, v19
	v_mov_b32_e32 v21, v12
	v_fma_f32 v23, v45, s1, -v23
	v_fma_f32 v15, v9, s6, -v17
	;; [unrolled: 1-line block ×3, first 2 shown]
	s_mov_b32 s1, 0x3f3bfb3b
	v_mov_b32_e32 v50, v49
	v_add_f32_e32 v31, v31, v48
	v_fmac_f32_e32 v10, 0xbf955555, v3
	v_fmac_f32_e32 v21, 0xbeae86e6, v6
	s_mov_b32 s0, 0xbf5ff5aa
	v_fma_f32 v6, v8, s1, -v11
	v_fmac_f32_e32 v50, 0xbeae86e6, v45
	v_add_f32_e32 v31, v31, v28
	v_add_f32_e32 v13, v13, v10
	;; [unrolled: 1-line block ×4, first 2 shown]
	v_fma_f32 v10, v7, s0, -v49
	v_fma_f32 v11, v14, s0, -v12
	;; [unrolled: 1-line block ×3, first 2 shown]
	v_fmac_f32_e32 v50, 0xbee1c552, v31
	v_fmac_f32_e32 v21, 0xbee1c552, v22
	;; [unrolled: 1-line block ×4, first 2 shown]
	v_add_f32_e32 v12, v6, v19
	v_add_f32_e32 v3, v50, v13
	v_fmac_f32_e32 v23, 0xbee1c552, v31
	v_add_f32_e32 v15, v15, v19
	v_fmac_f32_e32 v17, 0xbee1c552, v22
	v_sub_f32_e32 v7, v8, v10
	v_add_f32_e32 v6, v11, v12
	v_add_f32_e32 v9, v10, v8
	v_sub_f32_e32 v8, v12, v11
	v_sub_f32_e32 v13, v13, v50
	v_add_f32_e32 v12, v21, v16
	v_sub_f32_e32 v2, v16, v21
	v_add_f32_e32 v5, v23, v24
	v_sub_f32_e32 v4, v15, v17
	v_sub_f32_e32 v11, v24, v23
	v_add_f32_e32 v10, v17, v15
	ds_write2st64_b64 v57, v[0:1], v[12:13] offset1:3
	ds_write2st64_b64 v57, v[10:11], v[8:9] offset0:6 offset1:9
	ds_write2st64_b64 v57, v[6:7], v[4:5] offset0:12 offset1:15
	ds_write_b64 v57, v[2:3] offset:9216
.LBB0_9:
	s_or_b64 exec, exec, s[2:3]
	s_waitcnt lgkmcnt(0)
	s_barrier
	ds_read2_b64 v[0:3], v57 offset1:224
	v_mad_u64_u32 v[8:9], s[0:1], s10, v32, 0
	s_mov_b32 s0, 0x18618618
	s_mov_b32 s1, 0x3f486186
	s_waitcnt lgkmcnt(0)
	v_mul_f32_e32 v4, v40, v1
	v_fmac_f32_e32 v4, v39, v0
	v_cvt_f64_f32_e32 v[4:5], v4
	v_mul_f32_e32 v0, v40, v0
	v_fma_f32 v0, v39, v1, -v0
	v_cvt_f64_f32_e32 v[0:1], v0
	v_mul_f64 v[4:5], v[4:5], s[0:1]
	v_mad_u64_u32 v[10:11], s[2:3], s8, v58, 0
	v_mov_b32_e32 v6, v9
	v_mad_u64_u32 v[6:7], s[2:3], s11, v32, v[6:7]
	v_mul_f64 v[0:1], v[0:1], s[0:1]
	v_mov_b32_e32 v16, 0xfffff200
	v_cvt_f32_f64_e32 v12, v[4:5]
	v_mov_b32_e32 v4, v11
	v_mad_u64_u32 v[14:15], s[2:3], s9, v58, v[4:5]
	v_add_u32_e32 v4, 0xe00, v57
	v_mov_b32_e32 v9, v6
	ds_read2_b64 v[4:7], v4 offset1:224
	v_cvt_f32_f64_e32 v13, v[0:1]
	v_lshlrev_b64 v[0:1], 3, v[8:9]
	v_mov_b32_e32 v11, v14
	v_mov_b32_e32 v14, s5
	s_waitcnt lgkmcnt(0)
	v_mul_f32_e32 v8, v44, v7
	v_fmac_f32_e32 v8, v43, v6
	v_cvt_f64_f32_e32 v[8:9], v8
	v_add_co_u32_e32 v15, vcc, s4, v0
	v_mul_f32_e32 v6, v44, v6
	v_addc_co_u32_e32 v14, vcc, v14, v1, vcc
	v_mul_f64 v[0:1], v[8:9], s[0:1]
	v_fma_f32 v6, v43, v7, -v6
	v_cvt_f64_f32_e32 v[6:7], v6
	v_lshlrev_b64 v[8:9], 3, v[10:11]
	s_mul_i32 s2, s9, 0x1500
	v_add_co_u32_e32 v8, vcc, v15, v8
	v_mul_f64 v[6:7], v[6:7], s[0:1]
	v_cvt_f32_f64_e32 v10, v[0:1]
	v_mul_f32_e32 v0, v42, v3
	v_fmac_f32_e32 v0, v41, v2
	v_mul_f32_e32 v2, v42, v2
	v_cvt_f64_f32_e32 v[0:1], v0
	v_fma_f32 v2, v41, v3, -v2
	v_cvt_f64_f32_e32 v[2:3], v2
	v_addc_co_u32_e32 v9, vcc, v14, v9, vcc
	v_cvt_f32_f64_e32 v11, v[6:7]
	v_mul_f64 v[6:7], v[0:1], s[0:1]
	v_add_u32_e32 v0, 0x1c00, v57
	global_store_dwordx2 v[8:9], v[12:13], off
	v_mul_f64 v[12:13], v[2:3], s[0:1]
	ds_read2_b64 v[0:3], v0 offset1:224
	s_mul_hi_u32 s3, s8, 0x1500
	s_add_i32 s4, s3, s2
	s_mul_i32 s5, s8, 0x1500
	v_mov_b32_e32 v14, s4
	v_add_co_u32_e32 v8, vcc, s5, v8
	v_addc_co_u32_e32 v9, vcc, v9, v14, vcc
	global_store_dwordx2 v[8:9], v[10:11], off
	s_waitcnt lgkmcnt(0)
	v_mul_f32_e32 v10, v38, v1
	v_fmac_f32_e32 v10, v37, v0
	v_cvt_f64_f32_e32 v[10:11], v10
	v_mul_f32_e32 v0, v38, v0
	v_fma_f32 v0, v37, v1, -v0
	v_cvt_f64_f32_e32 v[0:1], v0
	v_mul_f64 v[10:11], v[10:11], s[0:1]
	v_cvt_f32_f64_e32 v6, v[6:7]
	v_cvt_f32_f64_e32 v7, v[12:13]
	v_mul_f64 v[0:1], v[0:1], s[0:1]
	v_mad_u64_u32 v[8:9], s[2:3], s8, v16, v[8:9]
	s_mul_i32 s2, s9, 0xfffff200
	s_sub_i32 s2, s2, s8
	v_cvt_f32_f64_e32 v10, v[10:11]
	v_mul_f32_e32 v11, v34, v5
	v_fmac_f32_e32 v11, v33, v4
	v_cvt_f64_f32_e32 v[12:13], v11
	v_mul_f32_e32 v4, v34, v4
	v_fma_f32 v4, v33, v5, -v4
	v_cvt_f64_f32_e32 v[4:5], v4
	v_cvt_f32_f64_e32 v11, v[0:1]
	v_mul_f64 v[0:1], v[12:13], s[0:1]
	v_mul_f32_e32 v12, v36, v3
	v_fmac_f32_e32 v12, v35, v2
	v_mul_f32_e32 v2, v36, v2
	v_fma_f32 v2, v35, v3, -v2
	v_mul_f64 v[4:5], v[4:5], s[0:1]
	v_cvt_f64_f32_e32 v[12:13], v12
	v_cvt_f64_f32_e32 v[2:3], v2
	v_add_u32_e32 v9, s2, v9
	v_mov_b32_e32 v15, s4
	v_mul_f64 v[12:13], v[12:13], s[0:1]
	v_mul_f64 v[2:3], v[2:3], s[0:1]
	v_add_co_u32_e32 v14, vcc, s5, v8
	v_addc_co_u32_e32 v15, vcc, v9, v15, vcc
	v_mad_u64_u32 v[16:17], s[0:1], s8, v16, v[14:15]
	v_cvt_f32_f64_e32 v0, v[0:1]
	v_cvt_f32_f64_e32 v1, v[4:5]
	v_add_u32_e32 v17, s2, v17
	global_store_dwordx2 v[8:9], v[6:7], off
	global_store_dwordx2 v[14:15], v[10:11], off
	;; [unrolled: 1-line block ×3, first 2 shown]
	v_cvt_f32_f64_e32 v0, v[12:13]
	v_cvt_f32_f64_e32 v1, v[2:3]
	v_mov_b32_e32 v3, s4
	v_add_co_u32_e32 v2, vcc, s5, v16
	v_addc_co_u32_e32 v3, vcc, v17, v3, vcc
	global_store_dwordx2 v[2:3], v[0:1], off
.LBB0_10:
	s_endpgm
	.section	.rodata,"a",@progbits
	.p2align	6, 0x0
	.amdhsa_kernel bluestein_single_fwd_len1344_dim1_sp_op_CI_CI
		.amdhsa_group_segment_fixed_size 10752
		.amdhsa_private_segment_fixed_size 0
		.amdhsa_kernarg_size 104
		.amdhsa_user_sgpr_count 6
		.amdhsa_user_sgpr_private_segment_buffer 1
		.amdhsa_user_sgpr_dispatch_ptr 0
		.amdhsa_user_sgpr_queue_ptr 0
		.amdhsa_user_sgpr_kernarg_segment_ptr 1
		.amdhsa_user_sgpr_dispatch_id 0
		.amdhsa_user_sgpr_flat_scratch_init 0
		.amdhsa_user_sgpr_private_segment_size 0
		.amdhsa_uses_dynamic_stack 0
		.amdhsa_system_sgpr_private_segment_wavefront_offset 0
		.amdhsa_system_sgpr_workgroup_id_x 1
		.amdhsa_system_sgpr_workgroup_id_y 0
		.amdhsa_system_sgpr_workgroup_id_z 0
		.amdhsa_system_sgpr_workgroup_info 0
		.amdhsa_system_vgpr_workitem_id 0
		.amdhsa_next_free_vgpr 95
		.amdhsa_next_free_sgpr 20
		.amdhsa_reserve_vcc 1
		.amdhsa_reserve_flat_scratch 0
		.amdhsa_float_round_mode_32 0
		.amdhsa_float_round_mode_16_64 0
		.amdhsa_float_denorm_mode_32 3
		.amdhsa_float_denorm_mode_16_64 3
		.amdhsa_dx10_clamp 1
		.amdhsa_ieee_mode 1
		.amdhsa_fp16_overflow 0
		.amdhsa_exception_fp_ieee_invalid_op 0
		.amdhsa_exception_fp_denorm_src 0
		.amdhsa_exception_fp_ieee_div_zero 0
		.amdhsa_exception_fp_ieee_overflow 0
		.amdhsa_exception_fp_ieee_underflow 0
		.amdhsa_exception_fp_ieee_inexact 0
		.amdhsa_exception_int_div_zero 0
	.end_amdhsa_kernel
	.text
.Lfunc_end0:
	.size	bluestein_single_fwd_len1344_dim1_sp_op_CI_CI, .Lfunc_end0-bluestein_single_fwd_len1344_dim1_sp_op_CI_CI
                                        ; -- End function
	.section	.AMDGPU.csdata,"",@progbits
; Kernel info:
; codeLenInByte = 6468
; NumSgprs: 24
; NumVgprs: 95
; ScratchSize: 0
; MemoryBound: 0
; FloatMode: 240
; IeeeMode: 1
; LDSByteSize: 10752 bytes/workgroup (compile time only)
; SGPRBlocks: 2
; VGPRBlocks: 23
; NumSGPRsForWavesPerEU: 24
; NumVGPRsForWavesPerEU: 95
; Occupancy: 2
; WaveLimiterHint : 1
; COMPUTE_PGM_RSRC2:SCRATCH_EN: 0
; COMPUTE_PGM_RSRC2:USER_SGPR: 6
; COMPUTE_PGM_RSRC2:TRAP_HANDLER: 0
; COMPUTE_PGM_RSRC2:TGID_X_EN: 1
; COMPUTE_PGM_RSRC2:TGID_Y_EN: 0
; COMPUTE_PGM_RSRC2:TGID_Z_EN: 0
; COMPUTE_PGM_RSRC2:TIDIG_COMP_CNT: 0
	.type	__hip_cuid_93ffac4a964aa0d6,@object ; @__hip_cuid_93ffac4a964aa0d6
	.section	.bss,"aw",@nobits
	.globl	__hip_cuid_93ffac4a964aa0d6
__hip_cuid_93ffac4a964aa0d6:
	.byte	0                               ; 0x0
	.size	__hip_cuid_93ffac4a964aa0d6, 1

	.ident	"AMD clang version 19.0.0git (https://github.com/RadeonOpenCompute/llvm-project roc-6.4.0 25133 c7fe45cf4b819c5991fe208aaa96edf142730f1d)"
	.section	".note.GNU-stack","",@progbits
	.addrsig
	.addrsig_sym __hip_cuid_93ffac4a964aa0d6
	.amdgpu_metadata
---
amdhsa.kernels:
  - .args:
      - .actual_access:  read_only
        .address_space:  global
        .offset:         0
        .size:           8
        .value_kind:     global_buffer
      - .actual_access:  read_only
        .address_space:  global
        .offset:         8
        .size:           8
        .value_kind:     global_buffer
      - .actual_access:  read_only
        .address_space:  global
        .offset:         16
        .size:           8
        .value_kind:     global_buffer
      - .actual_access:  read_only
        .address_space:  global
        .offset:         24
        .size:           8
        .value_kind:     global_buffer
      - .actual_access:  read_only
        .address_space:  global
        .offset:         32
        .size:           8
        .value_kind:     global_buffer
      - .offset:         40
        .size:           8
        .value_kind:     by_value
      - .address_space:  global
        .offset:         48
        .size:           8
        .value_kind:     global_buffer
      - .address_space:  global
        .offset:         56
        .size:           8
        .value_kind:     global_buffer
      - .address_space:  global
        .offset:         64
        .size:           8
        .value_kind:     global_buffer
      - .address_space:  global
        .offset:         72
        .size:           8
        .value_kind:     global_buffer
      - .offset:         80
        .size:           4
        .value_kind:     by_value
      - .address_space:  global
        .offset:         88
        .size:           8
        .value_kind:     global_buffer
      - .address_space:  global
        .offset:         96
        .size:           8
        .value_kind:     global_buffer
    .group_segment_fixed_size: 10752
    .kernarg_segment_align: 8
    .kernarg_segment_size: 104
    .language:       OpenCL C
    .language_version:
      - 2
      - 0
    .max_flat_workgroup_size: 224
    .name:           bluestein_single_fwd_len1344_dim1_sp_op_CI_CI
    .private_segment_fixed_size: 0
    .sgpr_count:     24
    .sgpr_spill_count: 0
    .symbol:         bluestein_single_fwd_len1344_dim1_sp_op_CI_CI.kd
    .uniform_work_group_size: 1
    .uses_dynamic_stack: false
    .vgpr_count:     95
    .vgpr_spill_count: 0
    .wavefront_size: 64
amdhsa.target:   amdgcn-amd-amdhsa--gfx906
amdhsa.version:
  - 1
  - 2
...

	.end_amdgpu_metadata
